;; amdgpu-corpus repo=ROCm/rocFFT kind=compiled arch=gfx950 opt=O3
	.text
	.amdgcn_target "amdgcn-amd-amdhsa--gfx950"
	.amdhsa_code_object_version 6
	.protected	fft_rtc_fwd_len66_factors_6_11_wgs_253_tpt_11_sp_ip_CI_unitstride_sbrr_R2C_dirReg ; -- Begin function fft_rtc_fwd_len66_factors_6_11_wgs_253_tpt_11_sp_ip_CI_unitstride_sbrr_R2C_dirReg
	.globl	fft_rtc_fwd_len66_factors_6_11_wgs_253_tpt_11_sp_ip_CI_unitstride_sbrr_R2C_dirReg
	.p2align	8
	.type	fft_rtc_fwd_len66_factors_6_11_wgs_253_tpt_11_sp_ip_CI_unitstride_sbrr_R2C_dirReg,@function
fft_rtc_fwd_len66_factors_6_11_wgs_253_tpt_11_sp_ip_CI_unitstride_sbrr_R2C_dirReg: ; @fft_rtc_fwd_len66_factors_6_11_wgs_253_tpt_11_sp_ip_CI_unitstride_sbrr_R2C_dirReg
; %bb.0:
	s_load_dwordx2 s[8:9], s[0:1], 0x50
	s_load_dwordx4 s[4:7], s[0:1], 0x0
	s_load_dwordx2 s[10:11], s[0:1], 0x18
	v_mul_u32_u24_e32 v1, 0x1746, v0
	v_lshrrev_b32_e32 v2, 16, v1
	v_mad_u64_u32 v[2:3], s[2:3], s2, 23, v[2:3]
	v_mov_b32_e32 v6, 0
	v_mov_b32_e32 v3, v6
	s_waitcnt lgkmcnt(0)
	v_cmp_lt_u64_e64 s[2:3], s[6:7], 2
	s_and_b64 vcc, exec, s[2:3]
	v_mov_b64_e32 v[4:5], 0
	v_mov_b64_e32 v[10:11], v[2:3]
	s_cbranch_vccnz .LBB0_8
; %bb.1:
	s_load_dwordx2 s[2:3], s[0:1], 0x10
	s_add_u32 s12, s10, 8
	s_addc_u32 s13, s11, 0
	s_mov_b64 s[14:15], 1
	v_mov_b64_e32 v[4:5], 0
	s_waitcnt lgkmcnt(0)
	s_add_u32 s16, s2, 8
	s_addc_u32 s17, s3, 0
	v_mov_b64_e32 v[8:9], v[2:3]
.LBB0_2:                                ; =>This Inner Loop Header: Depth=1
	s_load_dwordx2 s[18:19], s[16:17], 0x0
                                        ; implicit-def: $vgpr10_vgpr11
	s_waitcnt lgkmcnt(0)
	v_or_b32_e32 v7, s19, v9
	v_cmp_ne_u64_e32 vcc, 0, v[6:7]
	s_and_saveexec_b64 s[2:3], vcc
	s_xor_b64 s[20:21], exec, s[2:3]
	s_cbranch_execz .LBB0_4
; %bb.3:                                ;   in Loop: Header=BB0_2 Depth=1
	v_cvt_f32_u32_e32 v1, s18
	v_cvt_f32_u32_e32 v3, s19
	s_sub_u32 s2, 0, s18
	s_subb_u32 s3, 0, s19
	v_fmac_f32_e32 v1, 0x4f800000, v3
	v_rcp_f32_e32 v1, v1
	s_nop 0
	v_mul_f32_e32 v1, 0x5f7ffffc, v1
	v_mul_f32_e32 v3, 0x2f800000, v1
	v_trunc_f32_e32 v3, v3
	v_fmac_f32_e32 v1, 0xcf800000, v3
	v_cvt_u32_f32_e32 v3, v3
	v_cvt_u32_f32_e32 v1, v1
	v_mul_lo_u32 v7, s2, v3
	v_mul_hi_u32 v10, s2, v1
	v_mul_lo_u32 v11, s3, v1
	v_add_u32_e32 v7, v10, v7
	v_mul_lo_u32 v14, s2, v1
	v_add_u32_e32 v7, v7, v11
	v_mul_hi_u32 v10, v1, v14
	v_mul_hi_u32 v13, v1, v7
	v_mul_lo_u32 v12, v1, v7
	v_mov_b32_e32 v11, v6
	v_lshl_add_u64 v[10:11], v[10:11], 0, v[12:13]
	v_mul_hi_u32 v13, v3, v14
	v_mul_lo_u32 v14, v3, v14
	v_add_co_u32_e32 v10, vcc, v10, v14
	v_mul_hi_u32 v12, v3, v7
	s_nop 0
	v_addc_co_u32_e32 v10, vcc, v11, v13, vcc
	v_mov_b32_e32 v11, v6
	s_nop 0
	v_addc_co_u32_e32 v13, vcc, 0, v12, vcc
	v_mul_lo_u32 v12, v3, v7
	v_lshl_add_u64 v[10:11], v[10:11], 0, v[12:13]
	v_add_co_u32_e32 v1, vcc, v1, v10
	v_mul_hi_u32 v10, s2, v1
	s_nop 0
	v_addc_co_u32_e32 v3, vcc, v3, v11, vcc
	v_mul_lo_u32 v7, s2, v3
	v_add_u32_e32 v7, v10, v7
	v_mul_lo_u32 v10, s3, v1
	v_add_u32_e32 v7, v7, v10
	v_mul_lo_u32 v12, s2, v1
	v_mul_hi_u32 v15, v3, v12
	v_mul_lo_u32 v16, v3, v12
	v_mul_hi_u32 v11, v1, v7
	;; [unrolled: 2-line block ×3, first 2 shown]
	v_mov_b32_e32 v13, v6
	v_lshl_add_u64 v[10:11], v[12:13], 0, v[10:11]
	v_add_co_u32_e32 v10, vcc, v10, v16
	v_mul_hi_u32 v14, v3, v7
	s_nop 0
	v_addc_co_u32_e32 v10, vcc, v11, v15, vcc
	v_mul_lo_u32 v12, v3, v7
	s_nop 0
	v_addc_co_u32_e32 v13, vcc, 0, v14, vcc
	v_mov_b32_e32 v11, v6
	v_lshl_add_u64 v[10:11], v[10:11], 0, v[12:13]
	v_add_co_u32_e32 v1, vcc, v1, v10
	v_mul_hi_u32 v12, v8, v1
	s_nop 0
	v_addc_co_u32_e32 v3, vcc, v3, v11, vcc
	v_mad_u64_u32 v[10:11], s[2:3], v8, v3, 0
	v_mov_b32_e32 v13, v6
	v_lshl_add_u64 v[10:11], v[12:13], 0, v[10:11]
	v_mad_u64_u32 v[14:15], s[2:3], v9, v1, 0
	v_add_co_u32_e32 v1, vcc, v10, v14
	v_mad_u64_u32 v[12:13], s[2:3], v9, v3, 0
	s_nop 0
	v_addc_co_u32_e32 v10, vcc, v11, v15, vcc
	v_mov_b32_e32 v11, v6
	s_nop 0
	v_addc_co_u32_e32 v13, vcc, 0, v13, vcc
	v_lshl_add_u64 v[10:11], v[10:11], 0, v[12:13]
	v_mul_lo_u32 v1, s19, v10
	v_mul_lo_u32 v3, s18, v11
	v_mad_u64_u32 v[12:13], s[2:3], s18, v10, 0
	v_add3_u32 v1, v13, v3, v1
	v_sub_u32_e32 v3, v9, v1
	v_mov_b32_e32 v7, s19
	v_sub_co_u32_e32 v16, vcc, v8, v12
	v_lshl_add_u64 v[14:15], v[10:11], 0, 1
	s_nop 0
	v_subb_co_u32_e64 v3, s[2:3], v3, v7, vcc
	v_subrev_co_u32_e64 v7, s[2:3], s18, v16
	v_subb_co_u32_e32 v1, vcc, v9, v1, vcc
	s_nop 0
	v_subbrev_co_u32_e64 v3, s[2:3], 0, v3, s[2:3]
	v_cmp_le_u32_e64 s[2:3], s19, v3
	v_cmp_le_u32_e32 vcc, s19, v1
	s_nop 0
	v_cndmask_b32_e64 v12, 0, -1, s[2:3]
	v_cmp_le_u32_e64 s[2:3], s18, v7
	s_nop 1
	v_cndmask_b32_e64 v7, 0, -1, s[2:3]
	v_cmp_eq_u32_e64 s[2:3], s19, v3
	s_nop 1
	v_cndmask_b32_e64 v3, v12, v7, s[2:3]
	v_lshl_add_u64 v[12:13], v[10:11], 0, 2
	v_cmp_ne_u32_e64 s[2:3], 0, v3
	v_cndmask_b32_e64 v7, 0, -1, vcc
	v_cmp_le_u32_e32 vcc, s18, v16
	v_cndmask_b32_e64 v3, v15, v13, s[2:3]
	s_nop 0
	v_cndmask_b32_e64 v13, 0, -1, vcc
	v_cmp_eq_u32_e32 vcc, s19, v1
	s_nop 1
	v_cndmask_b32_e32 v1, v7, v13, vcc
	v_cmp_ne_u32_e32 vcc, 0, v1
	v_cndmask_b32_e64 v1, v14, v12, s[2:3]
	s_nop 0
	v_cndmask_b32_e32 v11, v11, v3, vcc
	v_cndmask_b32_e32 v10, v10, v1, vcc
.LBB0_4:                                ;   in Loop: Header=BB0_2 Depth=1
	s_andn2_saveexec_b64 s[2:3], s[20:21]
	s_cbranch_execz .LBB0_6
; %bb.5:                                ;   in Loop: Header=BB0_2 Depth=1
	v_cvt_f32_u32_e32 v1, s18
	s_sub_i32 s20, 0, s18
	v_mov_b32_e32 v11, v6
	v_rcp_iflag_f32_e32 v1, v1
	s_nop 0
	v_mul_f32_e32 v1, 0x4f7ffffe, v1
	v_cvt_u32_f32_e32 v1, v1
	v_mul_lo_u32 v3, s20, v1
	v_mul_hi_u32 v3, v1, v3
	v_add_u32_e32 v1, v1, v3
	v_mul_hi_u32 v1, v8, v1
	v_mul_lo_u32 v3, v1, s18
	v_sub_u32_e32 v3, v8, v3
	v_add_u32_e32 v7, 1, v1
	v_subrev_u32_e32 v10, s18, v3
	v_cmp_le_u32_e32 vcc, s18, v3
	s_nop 1
	v_cndmask_b32_e32 v3, v3, v10, vcc
	v_cndmask_b32_e32 v1, v1, v7, vcc
	v_add_u32_e32 v7, 1, v1
	v_cmp_le_u32_e32 vcc, s18, v3
	s_nop 1
	v_cndmask_b32_e32 v10, v1, v7, vcc
.LBB0_6:                                ;   in Loop: Header=BB0_2 Depth=1
	s_or_b64 exec, exec, s[2:3]
	v_mad_u64_u32 v[12:13], s[2:3], v10, s18, 0
	s_load_dwordx2 s[2:3], s[12:13], 0x0
	s_add_u32 s14, s14, 1
	v_mul_lo_u32 v1, v11, s18
	v_mul_lo_u32 v3, v10, s19
	s_addc_u32 s15, s15, 0
	v_add3_u32 v1, v13, v3, v1
	v_sub_co_u32_e32 v3, vcc, v8, v12
	s_add_u32 s12, s12, 8
	s_nop 0
	v_subb_co_u32_e32 v1, vcc, v9, v1, vcc
	s_addc_u32 s13, s13, 0
	v_mov_b64_e32 v[8:9], s[6:7]
	s_waitcnt lgkmcnt(0)
	v_mul_lo_u32 v1, s2, v1
	v_mul_lo_u32 v7, s3, v3
	v_mad_u64_u32 v[4:5], s[2:3], s2, v3, v[4:5]
	s_add_u32 s16, s16, 8
	v_cmp_ge_u64_e32 vcc, s[14:15], v[8:9]
	v_add3_u32 v5, v7, v5, v1
	s_addc_u32 s17, s17, 0
	s_cbranch_vccnz .LBB0_8
; %bb.7:                                ;   in Loop: Header=BB0_2 Depth=1
	v_mov_b64_e32 v[8:9], v[10:11]
	s_branch .LBB0_2
.LBB0_8:
	s_lshl_b64 s[2:3], s[6:7], 3
	s_add_u32 s2, s10, s2
	s_addc_u32 s3, s11, s3
	s_load_dwordx2 s[6:7], s[2:3], 0x0
	s_load_dwordx2 s[10:11], s[0:1], 0x20
	s_waitcnt lgkmcnt(0)
	v_mad_u64_u32 v[4:5], s[0:1], s6, v10, v[4:5]
	v_mul_lo_u32 v1, s6, v11
	v_mul_lo_u32 v3, s7, v10
	s_mov_b32 s0, 0xb21642c9
	v_add3_u32 v5, v3, v5, v1
	v_mul_hi_u32 v1, v2, s0
	v_lshrrev_b32_e32 v1, 4, v1
	v_mul_lo_u32 v1, v1, 23
	s_mov_b32 s0, 0x1745d175
	v_sub_u32_e32 v1, v2, v1
	v_mul_hi_u32 v2, v0, s0
	v_mul_u32_u24_e32 v2, 11, v2
	v_mul_u32_u24_e32 v1, 0x43, v1
	v_sub_u32_e32 v14, v0, v2
	v_cmp_gt_u64_e32 vcc, s[10:11], v[10:11]
	v_lshl_add_u64 v[12:13], v[4:5], 3, s[8:9]
	v_lshlrev_b32_e32 v0, 3, v1
	v_lshlrev_b32_e32 v61, 3, v14
	s_and_saveexec_b64 s[0:1], vcc
	s_cbranch_execz .LBB0_10
; %bb.9:
	v_mov_b32_e32 v15, 0
	v_lshl_add_u64 v[2:3], v[14:15], 3, v[12:13]
	global_load_dwordx2 v[4:5], v[2:3], off
	global_load_dwordx2 v[6:7], v[2:3], off offset:88
	global_load_dwordx2 v[8:9], v[2:3], off offset:176
	global_load_dwordx2 v[10:11], v[2:3], off offset:264
	global_load_dwordx2 v[16:17], v[2:3], off offset:352
	global_load_dwordx2 v[18:19], v[2:3], off offset:440
	v_add3_u32 v1, 0, v0, v61
	s_waitcnt vmcnt(4)
	ds_write2_b64 v1, v[4:5], v[6:7] offset1:11
	s_waitcnt vmcnt(2)
	ds_write2_b64 v1, v[8:9], v[10:11] offset0:22 offset1:33
	s_waitcnt vmcnt(0)
	ds_write2_b64 v1, v[16:17], v[18:19] offset0:44 offset1:55
.LBB0_10:
	s_or_b64 exec, exec, s[0:1]
	v_add_u32_e32 v15, 0, v0
	v_add3_u32 v62, 0, v61, v0
	s_waitcnt lgkmcnt(0)
	s_barrier
	ds_read2_b64 v[0:3], v62 offset0:11 offset1:22
	ds_read2_b64 v[4:7], v62 offset0:33 offset1:44
	v_add_u32_e32 v60, v15, v61
	ds_read_b64 v[8:9], v60
	ds_read_b64 v[16:17], v62 offset:440
	s_mov_b32 s0, 0x3f5db3d7
	s_waitcnt lgkmcnt(2)
	v_pk_add_f32 v[10:11], v[2:3], v[6:7]
	v_pk_add_f32 v[18:19], v[2:3], v[6:7] neg_lo:[0,1] neg_hi:[0,1]
	s_waitcnt lgkmcnt(1)
	v_pk_fma_f32 v[10:11], v[10:11], 0.5, v[8:9] op_sel_hi:[1,0,1] neg_lo:[1,0,0] neg_hi:[1,0,0]
	v_pk_mul_f32 v[20:21], v[18:19], s[0:1] op_sel_hi:[1,0]
	v_pk_fma_f32 v[24:25], v[18:19], s[0:1], v[10:11] op_sel:[0,0,1] op_sel_hi:[1,0,0] neg_lo:[1,0,0] neg_hi:[1,0,0]
	v_pk_fma_f32 v[22:23], v[18:19], s[0:1], v[10:11] op_sel:[0,0,1] op_sel_hi:[1,0,0]
	s_waitcnt lgkmcnt(0)
	v_pk_add_f32 v[18:19], v[4:5], v[16:17]
	v_pk_add_f32 v[26:27], v[4:5], v[16:17] neg_lo:[0,1] neg_hi:[0,1]
	v_pk_fma_f32 v[18:19], v[18:19], 0.5, v[0:1] op_sel_hi:[1,0,1] neg_lo:[1,0,0] neg_hi:[1,0,0]
	v_pk_mul_f32 v[26:27], v[26:27], s[0:1] op_sel_hi:[1,0]
	v_mov_b32_e32 v32, v8
	v_mov_b32_e32 v33, v0
	;; [unrolled: 1-line block ×6, first 2 shown]
	v_pk_add_f32 v[28:29], v[18:19], v[26:27] op_sel:[0,1] op_sel_hi:[1,0]
	s_mov_b32 s1, 0.5
	v_pk_add_f32 v[32:33], v[32:33], v[34:35]
	v_mov_b32_e32 v35, v16
	v_pk_add_f32 v[0:1], v[0:1], v[4:5]
	v_mov_b32_e32 v16, v7
	v_pk_add_f32 v[26:27], v[18:19], v[26:27] op_sel:[0,1] op_sel_hi:[1,0] neg_lo:[0,1] neg_hi:[0,1]
	v_pk_add_f32 v[2:3], v[0:1], v[16:17]
	v_pk_mul_f32 v[0:1], v[28:29], s[0:1] op_sel_hi:[0,1]
	s_mov_b32 s2, s1
	s_mov_b32 s3, s0
	v_pk_fma_f32 v[4:5], v[26:27], s[2:3], v[0:1] op_sel:[1,0,0] neg_lo:[0,0,1] neg_hi:[0,0,1]
	v_pk_fma_f32 v[0:1], v[26:27], s[2:3], v[0:1] op_sel:[1,0,0]
	s_mov_b32 s0, 0xbf5db3d7
	v_mov_b32_e32 v34, v6
	v_mov_b32_e32 v5, v1
	v_pk_mul_f32 v[0:1], v[26:27], s[0:1]
	v_mov_b32_e32 v25, v23
	v_mov_b32_e32 v30, v26
	;; [unrolled: 1-line block ×3, first 2 shown]
	v_mul_f32_e32 v19, 0.5, v26
	v_mul_f32_e32 v11, 0x3f5db3d7, v29
	v_pk_add_f32 v[32:33], v[32:33], v[34:35]
	v_mov_b32_e32 v18, v21
	v_mov_b32_e32 v1, v0
	v_pk_add_f32 v[10:11], v[10:11], v[18:19] neg_lo:[0,1] neg_hi:[0,1]
	v_pk_add_f32 v[18:19], v[24:25], v[4:5]
	v_pk_fma_f32 v[6:7], v[30:31], s[0:1], v[0:1] neg_lo:[1,0,0] neg_hi:[1,0,0]
	v_mov_b32_e32 v8, v32
	v_mov_b32_e32 v9, v2
	;; [unrolled: 1-line block ×3, first 2 shown]
	v_mad_u32_u24 v26, v14, 40, v62
	v_pk_add_f32 v[16:17], v[8:9], v[2:3]
	v_mov_b32_e32 v0, v19
	v_mov_b32_e32 v1, v18
	;; [unrolled: 1-line block ×5, first 2 shown]
	v_pk_add_f32 v[24:25], v[24:25], v[4:5] neg_lo:[0,1] neg_hi:[0,1]
	s_barrier
	ds_write2_b64 v26, v[16:17], v[0:1] offset1:1
	v_pk_add_f32 v[0:1], v[20:21], v[6:7]
	v_pk_add_f32 v[22:23], v[8:9], v[2:3] neg_lo:[0,1] neg_hi:[0,1]
	v_pk_add_f32 v[20:21], v[20:21], v[6:7] neg_lo:[0,1] neg_hi:[0,1]
	v_mov_b32_e32 v2, v25
	v_mov_b32_e32 v3, v24
	v_cmp_gt_u32_e64 s[0:1], 6, v14
	ds_write2_b64 v26, v[0:1], v[22:23] offset0:2 offset1:3
	ds_write2_b64 v26, v[2:3], v[20:21] offset0:4 offset1:5
	s_waitcnt lgkmcnt(0)
	s_barrier
	s_waitcnt lgkmcnt(0)
                                        ; implicit-def: $vgpr5
                                        ; implicit-def: $vgpr3
                                        ; implicit-def: $vgpr10
	s_and_saveexec_b64 s[2:3], s[0:1]
	s_cbranch_execz .LBB0_12
; %bb.11:
	ds_read_b64 v[16:17], v60
	ds_read2_b64 v[24:27], v62 offset0:6 offset1:12
	ds_read2_b64 v[28:31], v62 offset0:18 offset1:24
	;; [unrolled: 1-line block ×5, first 2 shown]
	s_waitcnt lgkmcnt(4)
	v_mov_b32_e32 v18, v25
	v_mov_b32_e32 v19, v24
	s_waitcnt lgkmcnt(2)
	v_mov_b32_e32 v21, v1
	v_mov_b32_e32 v20, v0
	;; [unrolled: 1-line block ×8, first 2 shown]
.LBB0_12:
	s_or_b64 exec, exec, s[2:3]
	s_waitcnt lgkmcnt(0)
	s_barrier
	s_and_saveexec_b64 s[2:3], s[0:1]
	s_cbranch_execz .LBB0_14
; %bb.13:
	v_add_u32_e32 v26, -6, v14
	v_cndmask_b32_e64 v26, v26, v14, s[0:1]
	v_mul_i32_i24_e32 v26, 10, v26
	v_mov_b32_e32 v27, 0
	v_lshl_add_u64 v[26:27], v[26:27], 3, s[4:5]
	global_load_dwordx4 v[28:31], v[26:27], off offset:64
	global_load_dwordx4 v[32:35], v[26:27], off offset:48
	;; [unrolled: 1-line block ×3, first 2 shown]
	global_load_dwordx4 v[52:55], v[26:27], off
	global_load_dwordx4 v[56:59], v[26:27], off offset:32
	v_mov_b32_e32 v26, v11
	v_mov_b32_e32 v44, v5
	;; [unrolled: 1-line block ×11, first 2 shown]
	s_mov_b32 s16, 0x3f575c64
	s_mov_b32 s17, 0xbf0a6770
	;; [unrolled: 1-line block ×32, first 2 shown]
	s_waitcnt vmcnt(4)
	v_pk_mul_f32 v[26:27], v[26:27], v[30:31] op_sel_hi:[0,1]
	s_waitcnt vmcnt(3)
	v_pk_mul_f32 v[44:45], v[44:45], v[32:33] op_sel_hi:[0,1]
	v_pk_mul_f32 v[72:73], v[38:39], v[28:29] op_sel_hi:[0,1]
	;; [unrolled: 1-line block ×3, first 2 shown]
	s_waitcnt vmcnt(0)
	v_pk_mul_f32 v[70:71], v[70:71], v[58:59] op_sel_hi:[0,1]
	v_pk_mul_f32 v[50:51], v[50:51], v[46:47] op_sel_hi:[0,1]
	;; [unrolled: 1-line block ×3, first 2 shown]
	v_mov_b32_e32 v74, v53
	v_pk_mul_f32 v[76:77], v[18:19], v[52:53]
	v_pk_mul_f32 v[78:79], v[36:37], v[54:55] op_sel_hi:[0,1]
	v_pk_fma_f32 v[36:37], v[10:11], v[30:31], v[26:27] op_sel:[0,0,1] op_sel_hi:[0,1,0] neg_lo:[0,0,1] neg_hi:[0,0,1]
	v_pk_fma_f32 v[38:39], v[10:11], v[30:31], v[26:27] op_sel:[0,0,1] op_sel_hi:[0,1,0]
	v_pk_fma_f32 v[30:31], v[4:5], v[32:33], v[44:45] op_sel:[0,0,1] op_sel_hi:[1,1,0] neg_lo:[0,0,1] neg_hi:[0,0,1]
	v_pk_fma_f32 v[4:5], v[4:5], v[32:33], v[44:45] op_sel:[0,0,1] op_sel_hi:[0,1,0]
	;; [unrolled: 2-line block ×3, first 2 shown]
	v_pk_mul_f32 v[68:69], v[68:69], v[56:57] op_sel_hi:[0,1]
	v_pk_fma_f32 v[26:27], v[8:9], v[28:29], v[72:73] op_sel:[0,0,1] op_sel_hi:[1,1,0] neg_lo:[0,0,1] neg_hi:[0,0,1]
	v_pk_fma_f32 v[8:9], v[8:9], v[28:29], v[72:73] op_sel:[0,0,1] op_sel_hi:[0,1,0]
	v_pk_fma_f32 v[28:29], v[6:7], v[34:35], v[42:43] op_sel:[0,0,1] op_sel_hi:[1,1,0] neg_lo:[0,0,1] neg_hi:[0,0,1]
	v_pk_fma_f32 v[6:7], v[6:7], v[34:35], v[42:43] op_sel:[0,0,1] op_sel_hi:[0,1,0]
	;; [unrolled: 2-line block ×4, first 2 shown]
	v_pk_mul_f32 v[24:25], v[18:19], v[74:75]
	v_mov_b32_e32 v2, v77
	v_pk_fma_f32 v[50:51], v[0:1], v[54:55], v[78:79] op_sel:[0,0,1] op_sel_hi:[1,1,0] neg_lo:[0,0,1] neg_hi:[0,0,1]
	v_pk_fma_f32 v[0:1], v[0:1], v[54:55], v[78:79] op_sel:[0,0,1] op_sel_hi:[0,1,0]
	v_pk_fma_f32 v[48:49], v[20:21], v[56:57], v[68:69] op_sel:[0,0,1] op_sel_hi:[1,1,0] neg_lo:[0,0,1] neg_hi:[0,0,1]
	v_pk_fma_f32 v[20:21], v[20:21], v[56:57], v[68:69] op_sel:[0,0,1] op_sel_hi:[0,1,0]
	v_pk_fma_f32 v[56:57], v[40:41], v[52:53], v[24:25] neg_lo:[0,0,1] neg_hi:[0,0,1]
	v_pk_fma_f32 v[58:59], v[18:19], v[52:53], v[2:3]
	v_mov_b32_e32 v27, v9
	v_mov_b32_e32 v51, v1
	v_mov_b32_e32 v29, v7
	v_mov_b32_e32 v31, v5
	v_mov_b32_e32 v4, v39
	v_pk_add_f32 v[6:7], v[56:57], v[36:37] neg_lo:[0,1] neg_hi:[0,1]
	v_mov_b32_e32 v5, v58
	v_pk_add_f32 v[64:65], v[56:57], v[36:37]
	v_mov_b32_e32 v45, v3
	v_pk_add_f32 v[8:9], v[50:51], v[26:27] neg_lo:[0,1] neg_hi:[0,1]
	v_pk_add_f32 v[2:3], v[50:51], v[26:27]
	v_pk_add_f32 v[66:67], v[58:59], v[4:5] neg_lo:[0,1] neg_hi:[0,1]
	v_pk_add_f32 v[4:5], v[4:5], v[38:39]
	v_mov_b32_e32 v65, v6
	v_mov_b32_e32 v43, v11
	;; [unrolled: 1-line block ×4, first 2 shown]
	v_pk_mul_f32 v[10:11], v[64:65], s[16:17]
	v_mov_b32_e32 v4, v66
	v_mov_b32_e32 v49, v21
	v_mov_b32_e32 v2, v9
	v_pk_mul_f32 v[6:7], v[68:69], s[12:13]
	v_pk_fma_f32 v[20:21], v[66:67], s[0:1], v[10:11] neg_lo:[1,0,0] neg_hi:[1,0,0]
	v_pk_fma_f32 v[18:19], v[4:5], s[0:1], v[10:11]
	v_mov_b32_e32 v47, v23
	v_pk_add_f32 v[22:23], v[42:43], v[28:29] neg_lo:[0,1] neg_hi:[0,1]
	v_pk_add_f32 v[0:1], v[42:43], v[28:29]
	v_pk_fma_f32 v[24:25], v[2:3], s[6:7], v[6:7] neg_lo:[1,0,0] neg_hi:[1,0,0]
	v_pk_fma_f32 v[8:9], v[2:3], s[6:7], v[6:7]
	v_mov_b32_e32 v21, v19
	v_pk_add_f32 v[20:21], v[16:17], v[20:21]
	v_mov_b32_e32 v25, v9
	v_mov_b32_e32 v70, v0
	;; [unrolled: 1-line block ×3, first 2 shown]
	v_pk_add_f32 v[24:25], v[24:25], v[20:21]
	v_pk_mul_f32 v[20:21], v[70:71], s[24:25]
	v_mov_b32_e32 v0, v23
	v_pk_fma_f32 v[32:33], v[0:1], s[8:9], v[20:21] neg_lo:[1,0,0] neg_hi:[1,0,0]
	v_pk_fma_f32 v[22:23], v[0:1], s[8:9], v[20:21]
	v_pk_mul_f32 v[84:85], v[68:69], s[26:27]
	v_mov_b32_e32 v33, v23
	v_pk_add_f32 v[40:41], v[32:33], v[24:25]
	v_pk_add_f32 v[32:33], v[46:47], v[30:31] neg_lo:[0,1] neg_hi:[0,1]
	v_pk_add_f32 v[24:25], v[46:47], v[30:31]
	v_mov_b32_e32 v73, v32
	v_mov_b32_e32 v72, v24
	;; [unrolled: 1-line block ×3, first 2 shown]
	v_pk_mul_f32 v[34:35], v[72:73], s[26:27]
	v_pk_fma_f32 v[86:87], v[2:3], s[10:11], v[84:85] neg_lo:[1,0,0] neg_hi:[1,0,0]
	v_pk_fma_f32 v[52:53], v[24:25], s[10:11], v[34:35] neg_lo:[1,0,0] neg_hi:[1,0,0]
	v_pk_fma_f32 v[32:33], v[24:25], s[10:11], v[34:35]
	v_pk_fma_f32 v[88:89], v[2:3], s[10:11], v[84:85]
	v_mov_b32_e32 v53, v33
	v_pk_add_f32 v[74:75], v[52:53], v[40:41]
	v_pk_add_f32 v[52:53], v[48:49], v[44:45] neg_lo:[0,1] neg_hi:[0,1]
	v_pk_add_f32 v[40:41], v[48:49], v[44:45]
	v_mov_b32_e32 v77, v52
	v_mov_b32_e32 v76, v40
	;; [unrolled: 1-line block ×3, first 2 shown]
	v_pk_mul_f32 v[54:55], v[76:77], s[30:31]
	v_mov_b32_e32 v87, v89
	v_pk_fma_f32 v[78:79], v[40:41], s[14:15], v[54:55] neg_lo:[1,0,0] neg_hi:[1,0,0]
	v_pk_fma_f32 v[52:53], v[40:41], s[14:15], v[54:55]
	v_pk_mul_f32 v[102:103], v[68:69], s[28:29]
	v_mov_b32_e32 v79, v53
	v_pk_add_f32 v[74:75], v[78:79], v[74:75]
	v_pk_mul_f32 v[78:79], v[64:65], s[12:13]
	v_pk_fma_f32 v[104:105], v[2:3], s[18:19], v[102:103] neg_lo:[1,0,0] neg_hi:[1,0,0]
	v_pk_fma_f32 v[80:81], v[66:67], s[6:7], v[78:79] neg_lo:[1,0,0] neg_hi:[1,0,0]
	v_pk_fma_f32 v[82:83], v[4:5], s[6:7], v[78:79]
	v_pk_fma_f32 v[106:107], v[2:3], s[18:19], v[102:103]
	v_mov_b32_e32 v81, v83
	v_pk_add_f32 v[80:81], v[16:17], v[80:81]
	v_mov_b32_e32 v105, v107
	v_pk_add_f32 v[80:81], v[86:87], v[80:81]
	v_pk_mul_f32 v[86:87], v[70:71], s[28:29]
	s_mov_b32 s13, 0x3f68dda4
	v_pk_fma_f32 v[90:91], v[0:1], s[18:19], v[86:87] neg_lo:[1,0,0] neg_hi:[1,0,0]
	v_pk_fma_f32 v[92:93], v[0:1], s[18:19], v[86:87]
	s_mov_b32 s28, s13
	v_mov_b32_e32 v91, v93
	v_pk_add_f32 v[80:81], v[90:91], v[80:81]
	v_pk_mul_f32 v[90:91], v[72:73], s[34:35]
	s_mov_b32 s29, s12
	v_pk_fma_f32 v[94:95], v[24:25], s[20:21], v[90:91] neg_lo:[1,0,0] neg_hi:[1,0,0]
	v_pk_fma_f32 v[96:97], v[24:25], s[20:21], v[90:91]
	v_mov_b32_e32 v57, v58
	v_mov_b32_e32 v95, v97
	v_pk_add_f32 v[80:81], v[94:95], v[80:81]
	v_pk_mul_f32 v[94:95], v[76:77], s[36:37]
	v_pk_mul_f32 v[124:125], v[68:69], s[34:35]
	v_pk_fma_f32 v[98:99], v[40:41], s[22:23], v[94:95] neg_lo:[1,0,0] neg_hi:[1,0,0]
	v_pk_fma_f32 v[100:101], v[40:41], s[22:23], v[94:95]
	v_mov_b32_e32 v38, v36
	v_mov_b32_e32 v99, v101
	v_pk_add_f32 v[80:81], v[98:99], v[80:81]
	ds_write2_b64 v62, v[74:75], v[80:81] offset0:6 offset1:12
	v_pk_mul_f32 v[74:75], v[64:65], s[24:25]
	v_pk_add_f32 v[36:37], v[16:17], v[56:57]
	v_pk_fma_f32 v[80:81], v[66:67], s[8:9], v[74:75] neg_lo:[1,0,0] neg_hi:[1,0,0]
	v_pk_fma_f32 v[98:99], v[4:5], s[8:9], v[74:75]
	v_pk_fma_f32 v[126:127], v[2:3], s[20:21], v[124:125] neg_lo:[1,0,0] neg_hi:[1,0,0]
	v_mov_b32_e32 v81, v99
	v_pk_add_f32 v[80:81], v[16:17], v[80:81]
	v_pk_fma_f32 v[128:129], v[2:3], s[20:21], v[124:125]
	v_pk_add_f32 v[80:81], v[104:105], v[80:81]
	v_pk_mul_f32 v[104:105], v[70:71], s[12:13]
	v_pk_add_f32 v[36:37], v[36:37], v[50:51]
	v_pk_fma_f32 v[108:109], v[0:1], s[28:29], v[104:105] neg_lo:[1,0,0] neg_hi:[1,0,0]
	v_pk_fma_f32 v[110:111], v[0:1], s[28:29], v[104:105]
	v_mov_b32_e32 v127, v129
	v_mov_b32_e32 v109, v111
	v_pk_add_f32 v[80:81], v[108:109], v[80:81]
	v_pk_mul_f32 v[108:109], v[72:73], s[16:17]
	v_pk_add_f32 v[36:37], v[36:37], v[42:43]
	v_pk_fma_f32 v[112:113], v[24:25], s[0:1], v[108:109] neg_lo:[1,0,0] neg_hi:[1,0,0]
	v_pk_fma_f32 v[114:115], v[24:25], s[0:1], v[108:109]
	v_pk_add_f32 v[36:37], v[36:37], v[46:47]
	v_mov_b32_e32 v113, v115
	v_pk_add_f32 v[80:81], v[112:113], v[80:81]
	v_pk_mul_f32 v[112:113], v[76:77], s[26:27]
	v_pk_add_f32 v[36:37], v[36:37], v[48:49]
	v_pk_fma_f32 v[116:117], v[40:41], s[10:11], v[112:113] neg_lo:[1,0,0] neg_hi:[1,0,0]
	v_pk_fma_f32 v[118:119], v[40:41], s[10:11], v[112:113]
	v_pk_add_f32 v[36:37], v[36:37], v[44:45]
	;; [unrolled: 7-line block ×3, first 2 shown]
	v_mov_b32_e32 v121, v123
	v_pk_add_f32 v[120:121], v[16:17], v[120:121]
	v_pk_add_f32 v[26:27], v[28:29], v[26:27]
	;; [unrolled: 1-line block ×3, first 2 shown]
	v_pk_mul_f32 v[126:127], v[70:71], s[16:17]
	v_pk_add_f32 v[26:27], v[26:27], v[38:39]
	v_pk_fma_f32 v[130:131], v[0:1], s[0:1], v[126:127] neg_lo:[1,0,0] neg_hi:[1,0,0]
	v_pk_fma_f32 v[132:133], v[0:1], s[0:1], v[126:127]
	v_pk_fma_f32 v[28:29], v[0:1], s[0:1], v[126:127] neg_lo:[0,0,1] neg_hi:[0,0,1]
	v_mov_b32_e32 v131, v133
	v_pk_add_f32 v[120:121], v[130:131], v[120:121]
	v_pk_mul_f32 v[130:131], v[72:73], s[30:31]
	v_mov_b32_e32 v133, v29
	v_pk_fma_f32 v[134:135], v[24:25], s[14:15], v[130:131] neg_lo:[1,0,0] neg_hi:[1,0,0]
	v_pk_fma_f32 v[136:137], v[24:25], s[14:15], v[130:131]
	v_pk_fma_f32 v[28:29], v[24:25], s[14:15], v[130:131] neg_lo:[0,0,1] neg_hi:[0,0,1]
	v_mov_b32_e32 v135, v137
	v_pk_add_f32 v[120:121], v[134:135], v[120:121]
	v_pk_mul_f32 v[134:135], v[76:77], s[12:13]
	v_mov_b32_e32 v137, v29
	v_pk_fma_f32 v[138:139], v[40:41], s[28:29], v[134:135] neg_lo:[1,0,0] neg_hi:[1,0,0]
	v_pk_fma_f32 v[140:141], v[40:41], s[28:29], v[134:135]
	v_pk_fma_f32 v[28:29], v[40:41], s[28:29], v[134:135] neg_lo:[0,0,1] neg_hi:[0,0,1]
	v_mov_b32_e32 v139, v141
	ds_write_b64 v60, v[26:27]
	v_pk_fma_f32 v[26:27], v[4:5], s[10:11], v[116:117] neg_lo:[0,0,1] neg_hi:[0,0,1]
	v_mov_b32_e32 v141, v29
	v_pk_fma_f32 v[28:29], v[4:5], s[8:9], v[74:75] neg_lo:[0,0,1] neg_hi:[0,0,1]
	v_mov_b32_e32 v123, v27
	;; [unrolled: 2-line block ×4, first 2 shown]
	v_pk_add_f32 v[26:27], v[16:17], v[122:123]
	v_mov_b32_e32 v107, v29
	v_pk_add_f32 v[28:29], v[16:17], v[98:99]
	v_pk_fma_f32 v[30:31], v[0:1], s[28:29], v[104:105] neg_lo:[0,0,1] neg_hi:[0,0,1]
	v_pk_add_f32 v[26:27], v[128:129], v[26:27]
	v_pk_add_f32 v[28:29], v[106:107], v[28:29]
	v_mov_b32_e32 v111, v31
	v_pk_fma_f32 v[30:31], v[24:25], s[0:1], v[108:109] neg_lo:[0,0,1] neg_hi:[0,0,1]
	v_pk_add_f32 v[120:121], v[138:139], v[120:121]
	v_pk_mul_f32 v[64:65], v[64:65], s[30:31]
	v_pk_add_f32 v[26:27], v[132:133], v[26:27]
	v_pk_add_f32 v[28:29], v[110:111], v[28:29]
	v_mov_b32_e32 v115, v31
	v_pk_fma_f32 v[30:31], v[40:41], s[10:11], v[112:113] neg_lo:[0,0,1] neg_hi:[0,0,1]
	ds_write2_b64 v62, v[80:81], v[120:121] offset0:18 offset1:24
	v_pk_fma_f32 v[66:67], v[66:67], s[14:15], v[64:65] neg_lo:[1,0,0] neg_hi:[1,0,0]
	v_pk_fma_f32 v[80:81], v[4:5], s[14:15], v[64:65]
	v_pk_mul_f32 v[68:69], v[68:69], s[36:37]
	v_pk_add_f32 v[26:27], v[136:137], v[26:27]
	v_pk_add_f32 v[28:29], v[114:115], v[28:29]
	v_mov_b32_e32 v119, v31
	v_mov_b32_e32 v67, v81
	v_pk_fma_f32 v[120:121], v[2:3], s[22:23], v[68:69] neg_lo:[1,0,0] neg_hi:[1,0,0]
	v_pk_fma_f32 v[138:139], v[2:3], s[22:23], v[68:69]
	v_pk_add_f32 v[26:27], v[140:141], v[26:27]
	v_pk_add_f32 v[28:29], v[118:119], v[28:29]
	v_pk_add_f32 v[66:67], v[16:17], v[66:67]
	v_mov_b32_e32 v121, v139
	v_pk_mul_f32 v[70:71], v[70:71], s[26:27]
	v_pk_fma_f32 v[64:65], v[4:5], s[14:15], v[64:65] neg_lo:[0,0,1] neg_hi:[0,0,1]
	ds_write2_b64 v62, v[26:27], v[28:29] offset0:42 offset1:48
	v_pk_fma_f32 v[26:27], v[4:5], s[6:7], v[78:79] neg_lo:[0,0,1] neg_hi:[0,0,1]
	v_pk_fma_f32 v[4:5], v[4:5], s[0:1], v[10:11] neg_lo:[0,0,1] neg_hi:[0,0,1]
	v_pk_add_f32 v[66:67], v[120:121], v[66:67]
	v_pk_fma_f32 v[120:121], v[0:1], s[10:11], v[70:71] neg_lo:[1,0,0] neg_hi:[1,0,0]
	v_pk_fma_f32 v[142:143], v[0:1], s[10:11], v[70:71]
	v_mov_b32_e32 v81, v65
	v_pk_fma_f32 v[64:65], v[2:3], s[22:23], v[68:69] neg_lo:[0,0,1] neg_hi:[0,0,1]
	v_pk_fma_f32 v[28:29], v[2:3], s[10:11], v[84:85] neg_lo:[0,0,1] neg_hi:[0,0,1]
	v_mov_b32_e32 v19, v5
	v_pk_fma_f32 v[2:3], v[2:3], s[6:7], v[6:7] neg_lo:[0,0,1] neg_hi:[0,0,1]
	v_mov_b32_e32 v121, v143
	v_pk_mul_f32 v[72:73], v[72:73], s[12:13]
	v_pk_fma_f32 v[68:69], v[0:1], s[10:11], v[70:71] neg_lo:[0,0,1] neg_hi:[0,0,1]
	v_mov_b32_e32 v83, v27
	v_mov_b32_e32 v89, v29
	v_pk_fma_f32 v[28:29], v[0:1], s[18:19], v[86:87] neg_lo:[0,0,1] neg_hi:[0,0,1]
	v_pk_add_f32 v[4:5], v[16:17], v[18:19]
	v_mov_b32_e32 v9, v3
	v_pk_fma_f32 v[0:1], v[0:1], s[8:9], v[20:21] neg_lo:[0,0,1] neg_hi:[0,0,1]
	v_pk_add_f32 v[66:67], v[120:121], v[66:67]
	v_pk_fma_f32 v[120:121], v[24:25], s[28:29], v[72:73] neg_lo:[1,0,0] neg_hi:[1,0,0]
	v_pk_fma_f32 v[144:145], v[24:25], s[28:29], v[72:73]
	v_mov_b32_e32 v139, v65
	v_pk_add_f32 v[64:65], v[16:17], v[80:81]
	v_pk_add_f32 v[26:27], v[16:17], v[82:83]
	;; [unrolled: 1-line block ×3, first 2 shown]
	v_mov_b32_e32 v23, v1
	v_mov_b32_e32 v121, v145
	v_pk_mul_f32 v[76:77], v[76:77], s[24:25]
	v_pk_add_f32 v[64:65], v[138:139], v[64:65]
	v_mov_b32_e32 v143, v69
	v_pk_fma_f32 v[68:69], v[24:25], s[28:29], v[72:73] neg_lo:[0,0,1] neg_hi:[0,0,1]
	v_pk_add_f32 v[26:27], v[88:89], v[26:27]
	v_mov_b32_e32 v93, v29
	v_pk_fma_f32 v[28:29], v[24:25], s[20:21], v[90:91] neg_lo:[0,0,1] neg_hi:[0,0,1]
	v_pk_add_f32 v[0:1], v[22:23], v[2:3]
	v_pk_fma_f32 v[2:3], v[24:25], s[10:11], v[34:35] neg_lo:[0,0,1] neg_hi:[0,0,1]
	v_pk_add_f32 v[66:67], v[120:121], v[66:67]
	v_pk_fma_f32 v[120:121], v[40:41], s[8:9], v[76:77] neg_lo:[1,0,0] neg_hi:[1,0,0]
	v_pk_fma_f32 v[146:147], v[40:41], s[8:9], v[76:77]
	v_pk_add_f32 v[64:65], v[142:143], v[64:65]
	v_mov_b32_e32 v145, v69
	v_pk_fma_f32 v[68:69], v[40:41], s[8:9], v[76:77] neg_lo:[0,0,1] neg_hi:[0,0,1]
	v_pk_add_f32 v[26:27], v[92:93], v[26:27]
	v_mov_b32_e32 v97, v29
	v_pk_fma_f32 v[28:29], v[40:41], s[22:23], v[94:95] neg_lo:[0,0,1] neg_hi:[0,0,1]
	v_mov_b32_e32 v33, v3
	v_pk_fma_f32 v[2:3], v[40:41], s[14:15], v[54:55] neg_lo:[0,0,1] neg_hi:[0,0,1]
	v_mov_b32_e32 v121, v147
	v_pk_add_f32 v[64:65], v[144:145], v[64:65]
	v_mov_b32_e32 v147, v69
	v_pk_add_f32 v[26:27], v[96:97], v[26:27]
	;; [unrolled: 2-line block ×4, first 2 shown]
	v_pk_add_f32 v[64:65], v[146:147], v[64:65]
	v_pk_add_f32 v[26:27], v[100:101], v[26:27]
	;; [unrolled: 1-line block ×3, first 2 shown]
	ds_write2_b64 v62, v[66:67], v[64:65] offset0:30 offset1:36
	ds_write2_b64 v62, v[26:27], v[0:1] offset0:54 offset1:60
.LBB0_14:
	s_or_b64 exec, exec, s[2:3]
	s_waitcnt lgkmcnt(0)
	s_barrier
	ds_read_b64 v[4:5], v60
	v_sub_u32_e32 v6, v15, v61
	v_cmp_ne_u32_e64 s[0:1], 0, v14
                                        ; implicit-def: $vgpr3
                                        ; implicit-def: $vgpr7
                                        ; implicit-def: $vgpr0_vgpr1
	s_and_saveexec_b64 s[2:3], s[0:1]
	s_xor_b64 s[0:1], exec, s[2:3]
	s_cbranch_execz .LBB0_16
; %bb.15:
	v_mov_b32_e32 v15, 0
	v_lshl_add_u64 v[0:1], v[14:15], 3, s[4:5]
	global_load_dwordx2 v[0:1], v[0:1], off offset:480
	ds_read_b64 v[2:3], v6 offset:528
	s_waitcnt lgkmcnt(0)
	v_pk_add_f32 v[8:9], v[2:3], v[4:5]
	v_pk_add_f32 v[2:3], v[4:5], v[2:3] neg_lo:[0,1] neg_hi:[0,1]
	v_pk_mul_f32 v[4:5], v[8:9], 0.5 op_sel_hi:[1,0]
	v_mul_f32_e32 v7, 0.5, v2
	v_mul_f32_e32 v11, 0.5, v3
	s_waitcnt vmcnt(0)
	v_mul_f32_e32 v2, v1, v7
	v_mov_b32_e32 v3, v0
	v_fma_f32 v10, v1, v7, v4
	v_fma_f32 v16, v5, v1, v11
	v_fma_f32 v1, v5, v1, -v11
	v_pk_mul_f32 v[4:5], v[4:5], v[2:3]
	v_pk_fma_f32 v[2:3], v[8:9], 0.5, v[2:3] op_sel_hi:[1,0,1] neg_lo:[0,0,1] neg_hi:[0,0,1]
	v_mov_b32_e32 v11, v5
	v_fma_f32 v3, -v0, v7, v16
	v_fma_f32 v0, -v0, v7, v1
	v_mov_b32_e32 v1, v2
	ds_write_b32 v60, v3 offset:4
	ds_write_b32 v6, v0 offset:532
	v_add_f32_e32 v7, v5, v10
	v_pk_add_f32 v[2:3], v[0:1], v[10:11] neg_lo:[0,1] neg_hi:[0,1]
	v_mov_b64_e32 v[0:1], v[14:15]
                                        ; implicit-def: $vgpr4_vgpr5
                                        ; implicit-def: $vgpr15
.LBB0_16:
	s_andn2_saveexec_b64 s[0:1], s[0:1]
	s_cbranch_execz .LBB0_18
; %bb.17:
	v_mov_b32_e32 v0, 0
	ds_write_b32 v60, v0 offset:4
	ds_write_b32 v6, v0 offset:532
	ds_read_b32 v0, v15 offset:268
	s_waitcnt lgkmcnt(3)
	v_pk_add_f32 v[2:3], v[4:5], v[4:5] op_sel:[0,1] op_sel_hi:[0,1] neg_lo:[0,1] neg_hi:[0,1]
	v_add_f32_e32 v7, v4, v5
	s_waitcnt lgkmcnt(0)
	v_xor_b32_e32 v0, 0x80000000, v0
	ds_write_b32 v15, v0 offset:268
	v_mov_b64_e32 v[0:1], 0
.LBB0_18:
	s_or_b64 exec, exec, s[0:1]
	s_add_u32 s0, s4, 0x1e0
	s_addc_u32 s1, s5, 0
	s_waitcnt lgkmcnt(0)
	v_lshl_add_u64 v[4:5], v[0:1], 3, s[0:1]
	global_load_dwordx2 v[8:9], v[4:5], off offset:88
	global_load_dwordx2 v[10:11], v[4:5], off offset:176
	ds_write_b32 v60, v7
	ds_write_b32 v6, v3 offset:528
	ds_read_b64 v[2:3], v60 offset:88
	ds_read_b64 v[4:5], v6 offset:440
	v_mov_b32_e32 v17, 0.5
	v_mov_b32_e32 v18, v17
	s_waitcnt lgkmcnt(0)
	v_pk_add_f32 v[20:21], v[2:3], v[4:5]
	v_pk_add_f32 v[2:3], v[2:3], v[4:5] neg_lo:[0,1] neg_hi:[0,1]
	v_mov_b32_e32 v4, v21
	v_mov_b32_e32 v5, v2
	v_pk_mul_f32 v[4:5], v[4:5], 0.5 op_sel_hi:[1,0]
	s_waitcnt vmcnt(1)
	v_mov_b32_e32 v19, v9
	v_mov_b32_e32 v21, v4
	v_mov_b32_e32 v2, v5
	v_mov_b32_e32 v16, v9
	v_pk_mul_f32 v[18:19], v[20:21], v[18:19]
	s_nop 0
	v_pk_fma_f32 v[20:21], v[16:17], v[2:3], v[18:19] neg_lo:[1,0,0] neg_hi:[1,0,0]
	v_pk_fma_f32 v[2:3], v[16:17], v[2:3], v[18:19]
	v_pk_fma_f32 v[18:19], v[8:9], v[4:5], v[20:21] op_sel_hi:[0,1,1] neg_lo:[1,0,0] neg_hi:[1,0,0]
	v_pk_fma_f32 v[20:21], v[8:9], v[4:5], v[2:3] op_sel_hi:[0,1,1]
	v_pk_fma_f32 v[2:3], v[8:9], v[4:5], v[2:3] op_sel_hi:[0,1,1] neg_lo:[1,0,0] neg_hi:[1,0,0]
	v_mov_b32_e32 v21, v3
	ds_write_b64 v60, v[20:21] offset:88
	ds_write_b64 v6, v[18:19] offset:440
	ds_read_b64 v[2:3], v60 offset:176
	ds_read_b64 v[4:5], v6 offset:352
	v_mov_b32_e32 v8, v17
	s_waitcnt vmcnt(0)
	v_mov_b32_e32 v9, v11
	v_mov_b32_e32 v16, v11
	s_waitcnt lgkmcnt(0)
	v_pk_add_f32 v[18:19], v[2:3], v[4:5]
	v_pk_add_f32 v[2:3], v[2:3], v[4:5] neg_lo:[0,1] neg_hi:[0,1]
	v_mov_b32_e32 v4, v19
	v_mov_b32_e32 v5, v2
	v_pk_mul_f32 v[4:5], v[4:5], 0.5 op_sel_hi:[1,0]
	s_nop 0
	v_mov_b32_e32 v19, v4
	v_mov_b32_e32 v2, v5
	v_pk_mul_f32 v[8:9], v[18:19], v[8:9]
	s_nop 0
	v_pk_fma_f32 v[18:19], v[16:17], v[2:3], v[8:9] neg_lo:[1,0,0] neg_hi:[1,0,0]
	v_pk_fma_f32 v[2:3], v[16:17], v[2:3], v[8:9]
	v_pk_fma_f32 v[8:9], v[10:11], v[4:5], v[18:19] op_sel_hi:[0,1,1] neg_lo:[1,0,0] neg_hi:[1,0,0]
	v_pk_fma_f32 v[16:17], v[10:11], v[4:5], v[2:3] op_sel_hi:[0,1,1]
	v_pk_fma_f32 v[2:3], v[10:11], v[4:5], v[2:3] op_sel_hi:[0,1,1] neg_lo:[1,0,0] neg_hi:[1,0,0]
	v_mov_b32_e32 v17, v3
	ds_write_b64 v60, v[16:17] offset:176
	ds_write_b64 v6, v[8:9] offset:352
	s_waitcnt lgkmcnt(0)
	s_barrier
	s_and_saveexec_b64 s[0:1], vcc
	s_cbranch_execz .LBB0_21
; %bb.19:
	ds_read2_b64 v[2:5], v60 offset1:11
	ds_read2_b64 v[6:9], v60 offset0:22 offset1:33
	v_lshl_add_u64 v[0:1], v[0:1], 3, v[12:13]
	ds_read2_b64 v[16:19], v60 offset0:44 offset1:55
	v_cmp_eq_u32_e32 vcc, 10, v14
	s_waitcnt lgkmcnt(2)
	global_store_dwordx2 v[0:1], v[2:3], off
	global_store_dwordx2 v[0:1], v[4:5], off offset:88
	s_waitcnt lgkmcnt(1)
	global_store_dwordx2 v[0:1], v[6:7], off offset:176
	global_store_dwordx2 v[0:1], v[8:9], off offset:264
	s_waitcnt lgkmcnt(0)
	global_store_dwordx2 v[0:1], v[16:17], off offset:352
	global_store_dwordx2 v[0:1], v[18:19], off offset:440
	s_and_b64 exec, exec, vcc
	s_cbranch_execz .LBB0_21
; %bb.20:
	ds_read_b64 v[0:1], v60 offset:448
	s_waitcnt lgkmcnt(0)
	global_store_dwordx2 v[12:13], v[0:1], off offset:528
.LBB0_21:
	s_endpgm
	.section	.rodata,"a",@progbits
	.p2align	6, 0x0
	.amdhsa_kernel fft_rtc_fwd_len66_factors_6_11_wgs_253_tpt_11_sp_ip_CI_unitstride_sbrr_R2C_dirReg
		.amdhsa_group_segment_fixed_size 0
		.amdhsa_private_segment_fixed_size 0
		.amdhsa_kernarg_size 88
		.amdhsa_user_sgpr_count 2
		.amdhsa_user_sgpr_dispatch_ptr 0
		.amdhsa_user_sgpr_queue_ptr 0
		.amdhsa_user_sgpr_kernarg_segment_ptr 1
		.amdhsa_user_sgpr_dispatch_id 0
		.amdhsa_user_sgpr_kernarg_preload_length 0
		.amdhsa_user_sgpr_kernarg_preload_offset 0
		.amdhsa_user_sgpr_private_segment_size 0
		.amdhsa_uses_dynamic_stack 0
		.amdhsa_enable_private_segment 0
		.amdhsa_system_sgpr_workgroup_id_x 1
		.amdhsa_system_sgpr_workgroup_id_y 0
		.amdhsa_system_sgpr_workgroup_id_z 0
		.amdhsa_system_sgpr_workgroup_info 0
		.amdhsa_system_vgpr_workitem_id 0
		.amdhsa_next_free_vgpr 148
		.amdhsa_next_free_sgpr 38
		.amdhsa_accum_offset 148
		.amdhsa_reserve_vcc 1
		.amdhsa_float_round_mode_32 0
		.amdhsa_float_round_mode_16_64 0
		.amdhsa_float_denorm_mode_32 3
		.amdhsa_float_denorm_mode_16_64 3
		.amdhsa_dx10_clamp 1
		.amdhsa_ieee_mode 1
		.amdhsa_fp16_overflow 0
		.amdhsa_tg_split 0
		.amdhsa_exception_fp_ieee_invalid_op 0
		.amdhsa_exception_fp_denorm_src 0
		.amdhsa_exception_fp_ieee_div_zero 0
		.amdhsa_exception_fp_ieee_overflow 0
		.amdhsa_exception_fp_ieee_underflow 0
		.amdhsa_exception_fp_ieee_inexact 0
		.amdhsa_exception_int_div_zero 0
	.end_amdhsa_kernel
	.text
.Lfunc_end0:
	.size	fft_rtc_fwd_len66_factors_6_11_wgs_253_tpt_11_sp_ip_CI_unitstride_sbrr_R2C_dirReg, .Lfunc_end0-fft_rtc_fwd_len66_factors_6_11_wgs_253_tpt_11_sp_ip_CI_unitstride_sbrr_R2C_dirReg
                                        ; -- End function
	.section	.AMDGPU.csdata,"",@progbits
; Kernel info:
; codeLenInByte = 5072
; NumSgprs: 44
; NumVgprs: 148
; NumAgprs: 0
; TotalNumVgprs: 148
; ScratchSize: 0
; MemoryBound: 0
; FloatMode: 240
; IeeeMode: 1
; LDSByteSize: 0 bytes/workgroup (compile time only)
; SGPRBlocks: 5
; VGPRBlocks: 18
; NumSGPRsForWavesPerEU: 44
; NumVGPRsForWavesPerEU: 148
; AccumOffset: 148
; Occupancy: 3
; WaveLimiterHint : 1
; COMPUTE_PGM_RSRC2:SCRATCH_EN: 0
; COMPUTE_PGM_RSRC2:USER_SGPR: 2
; COMPUTE_PGM_RSRC2:TRAP_HANDLER: 0
; COMPUTE_PGM_RSRC2:TGID_X_EN: 1
; COMPUTE_PGM_RSRC2:TGID_Y_EN: 0
; COMPUTE_PGM_RSRC2:TGID_Z_EN: 0
; COMPUTE_PGM_RSRC2:TIDIG_COMP_CNT: 0
; COMPUTE_PGM_RSRC3_GFX90A:ACCUM_OFFSET: 36
; COMPUTE_PGM_RSRC3_GFX90A:TG_SPLIT: 0
	.text
	.p2alignl 6, 3212836864
	.fill 256, 4, 3212836864
	.type	__hip_cuid_558f3ccf38ebe1ca,@object ; @__hip_cuid_558f3ccf38ebe1ca
	.section	.bss,"aw",@nobits
	.globl	__hip_cuid_558f3ccf38ebe1ca
__hip_cuid_558f3ccf38ebe1ca:
	.byte	0                               ; 0x0
	.size	__hip_cuid_558f3ccf38ebe1ca, 1

	.ident	"AMD clang version 19.0.0git (https://github.com/RadeonOpenCompute/llvm-project roc-6.4.0 25133 c7fe45cf4b819c5991fe208aaa96edf142730f1d)"
	.section	".note.GNU-stack","",@progbits
	.addrsig
	.addrsig_sym __hip_cuid_558f3ccf38ebe1ca
	.amdgpu_metadata
---
amdhsa.kernels:
  - .agpr_count:     0
    .args:
      - .actual_access:  read_only
        .address_space:  global
        .offset:         0
        .size:           8
        .value_kind:     global_buffer
      - .offset:         8
        .size:           8
        .value_kind:     by_value
      - .actual_access:  read_only
        .address_space:  global
        .offset:         16
        .size:           8
        .value_kind:     global_buffer
      - .actual_access:  read_only
        .address_space:  global
        .offset:         24
        .size:           8
        .value_kind:     global_buffer
      - .offset:         32
        .size:           8
        .value_kind:     by_value
      - .actual_access:  read_only
        .address_space:  global
        .offset:         40
        .size:           8
        .value_kind:     global_buffer
      - .actual_access:  read_only
        .address_space:  global
        .offset:         48
        .size:           8
        .value_kind:     global_buffer
      - .offset:         56
        .size:           4
        .value_kind:     by_value
      - .actual_access:  read_only
        .address_space:  global
        .offset:         64
        .size:           8
        .value_kind:     global_buffer
      - .actual_access:  read_only
        .address_space:  global
        .offset:         72
        .size:           8
        .value_kind:     global_buffer
      - .address_space:  global
        .offset:         80
        .size:           8
        .value_kind:     global_buffer
    .group_segment_fixed_size: 0
    .kernarg_segment_align: 8
    .kernarg_segment_size: 88
    .language:       OpenCL C
    .language_version:
      - 2
      - 0
    .max_flat_workgroup_size: 253
    .name:           fft_rtc_fwd_len66_factors_6_11_wgs_253_tpt_11_sp_ip_CI_unitstride_sbrr_R2C_dirReg
    .private_segment_fixed_size: 0
    .sgpr_count:     44
    .sgpr_spill_count: 0
    .symbol:         fft_rtc_fwd_len66_factors_6_11_wgs_253_tpt_11_sp_ip_CI_unitstride_sbrr_R2C_dirReg.kd
    .uniform_work_group_size: 1
    .uses_dynamic_stack: false
    .vgpr_count:     148
    .vgpr_spill_count: 0
    .wavefront_size: 64
amdhsa.target:   amdgcn-amd-amdhsa--gfx950
amdhsa.version:
  - 1
  - 2
...

	.end_amdgpu_metadata
